;; amdgpu-corpus repo=triton-lang/triton kind=triton arch=gfx1201 opt=O3 lang=triton
	.amdgcn_target "amdgcn-amd-amdhsa--gfx1201"
	.amdhsa_code_object_version 5
	.text
	.globl	cross_entropy_kernel            ; -- Begin function cross_entropy_kernel
	.p2align	8
	.type	cross_entropy_kernel,@function
cross_entropy_kernel:                   ; @cross_entropy_kernel
.Lfunc_begin0:
	.file	1 "/root/src/amdgpu-assembly/repos/triton-lang__triton-aot" "cross_entropy.py"
	.loc	1 7 0                           ; cross_entropy.py:7:0
	.cfi_sections .debug_frame
	.cfi_startproc
; %bb.0:
	s_load_b64 s[16:17], s[0:1], 0x18
.Ltmp0:
	.loc	1 11 24 prologue_end            ; cross_entropy.py:11:24
	v_and_b32_e32 v33, 31, v0
	.loc	1 20 29                         ; cross_entropy.py:20:29
	s_bfe_u32 s19, ttmp8, 0x50019
	s_mov_b32 s23, 0x31027000
	.loc	1 11 24                         ; cross_entropy.py:11:24
	s_lshl_b32 s2, s19, 5
	s_mov_b32 s22, 0x7ffffffe
	v_and_or_b32 v1, 0x60, s2, v33
	s_load_b64 s[2:3], s[0:1], 0x0
	s_mov_b32 s24, ttmp9
	s_delay_alu instid0(VALU_DEP_1)
	v_or_b32_e32 v31, 0x80, v1
	v_or_b32_e32 v29, 0x100, v1
	;; [unrolled: 1-line block ×7, first 2 shown]
	.loc	1 13 21                         ; cross_entropy.py:13:21
	v_lshlrev_b32_e32 v2, 1, v1
	v_lshlrev_b32_e32 v4, 1, v31
	.loc	1 10 24                         ; cross_entropy.py:10:24
	s_wait_kmcnt 0x0
	s_mul_i32 s4, s16, ttmp9
	.loc	1 12 18                         ; cross_entropy.py:12:18
	v_cmp_gt_i32_e32 vcc_lo, s17, v1
	.loc	1 10 18                         ; cross_entropy.py:10:18
	s_ashr_i32 s5, s4, 31
	.loc	1 13 21                         ; cross_entropy.py:13:21
	v_lshlrev_b32_e32 v6, 1, v29
	.loc	1 10 18                         ; cross_entropy.py:10:18
	s_lshl_b64 s[4:5], s[4:5], 1
	.loc	1 13 21                         ; cross_entropy.py:13:21
	v_lshlrev_b32_e32 v8, 1, v27
	v_lshlrev_b32_e32 v10, 1, v25
	.loc	1 10 18                         ; cross_entropy.py:10:18
	s_add_nc_u64 s[20:21], s[2:3], s[4:5]
	.loc	1 12 18                         ; cross_entropy.py:12:18
	v_cmp_gt_i32_e64 s2, s17, v31
	v_cmp_gt_i32_e64 s3, s17, v29
	;; [unrolled: 1-line block ×3, first 2 shown]
	.loc	1 13 21                         ; cross_entropy.py:13:21
	v_lshlrev_b32_e32 v12, 1, v23
	.loc	1 12 18                         ; cross_entropy.py:12:18
	v_cmp_gt_i32_e64 s5, s17, v25
	.loc	1 13 21                         ; cross_entropy.py:13:21
	v_lshlrev_b32_e32 v14, 1, v21
	v_lshlrev_b32_e32 v16, 1, v19
	.loc	1 12 18                         ; cross_entropy.py:12:18
	v_cmp_gt_i32_e64 s6, s17, v23
	v_cmp_gt_i32_e64 s7, s17, v21
	;; [unrolled: 1-line block ×3, first 2 shown]
	.loc	1 13 21                         ; cross_entropy.py:13:21
	v_cndmask_b32_e32 v2, 0x80000000, v2, vcc_lo
	s_wait_alu depctr_va_sdst(0)
	v_cndmask_b32_e64 v4, 0x80000000, v4, s2
	v_cndmask_b32_e64 v6, 0x80000000, v6, s3
	s_and_b32 s21, s21, 0xffff
	v_cndmask_b32_e64 v8, 0x80000000, v8, s4
	v_cndmask_b32_e64 v10, 0x80000000, v10, s5
	;; [unrolled: 1-line block ×5, first 2 shown]
	s_clause 0x7
	buffer_load_u16 v2, v2, s[20:23], null offen
	buffer_load_u16 v4, v4, s[20:23], null offen
	;; [unrolled: 1-line block ×8, first 2 shown]
	.loc	1 11 24                         ; cross_entropy.py:11:24
	v_or_b32_e32 v17, 0x400, v1
	v_or_b32_e32 v15, 0x480, v1
	;; [unrolled: 1-line block ×5, first 2 shown]
	.loc	1 13 21                         ; cross_entropy.py:13:21
	v_lshlrev_b32_e32 v18, 1, v17
	.loc	1 12 18                         ; cross_entropy.py:12:18
	v_cmp_gt_i32_e64 s9, s17, v17
	.loc	1 13 21                         ; cross_entropy.py:13:21
	v_lshlrev_b32_e32 v20, 1, v15
	.loc	1 12 18                         ; cross_entropy.py:12:18
	v_cmp_gt_i32_e64 s10, s17, v15
	;; [unrolled: 4-line block ×4, first 2 shown]
	.loc	1 13 21                         ; cross_entropy.py:13:21
	s_wait_alu depctr_va_sdst(0)
	v_cndmask_b32_e64 v18, 0x80000000, v18, s9
	.loc	1 11 24                         ; cross_entropy.py:11:24
	v_or_b32_e32 v7, 0x680, v1
	.loc	1 13 21                         ; cross_entropy.py:13:21
	v_cndmask_b32_e64 v20, 0x80000000, v20, s10
	.loc	1 11 24                         ; cross_entropy.py:11:24
	v_or_b32_e32 v5, 0x700, v1
	.loc	1 13 21                         ; cross_entropy.py:13:21
	;; [unrolled: 4-line block ×3, first 2 shown]
	v_cndmask_b32_e64 v24, 0x80000000, v24, s12
	v_lshlrev_b32_e32 v26, 1, v9
	s_clause 0x3
	buffer_load_u16 v18, v18, s[20:23], null offen
	buffer_load_u16 v20, v20, s[20:23], null offen
	buffer_load_u16 v22, v22, s[20:23], null offen
	buffer_load_u16 v24, v24, s[20:23], null offen
	.loc	1 12 18                         ; cross_entropy.py:12:18
	v_cmp_gt_i32_e64 s13, s17, v9
	.loc	1 13 21                         ; cross_entropy.py:13:21
	v_lshlrev_b32_e32 v28, 1, v7
	.loc	1 12 18                         ; cross_entropy.py:12:18
	v_cmp_gt_i32_e64 s14, s17, v7
	.loc	1 13 21                         ; cross_entropy.py:13:21
	v_lshlrev_b32_e32 v30, 1, v5
	;; [unrolled: 4-line block ×3, first 2 shown]
	.loc	1 12 18                         ; cross_entropy.py:12:18
	v_cmp_gt_i32_e64 s16, s17, v3
	.loc	1 13 21                         ; cross_entropy.py:13:21
	s_wait_alu depctr_va_sdst(0)
	v_cndmask_b32_e64 v26, 0x80000000, v26, s13
	v_cndmask_b32_e64 v28, 0x80000000, v28, s14
	;; [unrolled: 1-line block ×4, first 2 shown]
	s_clause 0x3
	buffer_load_u16 v26, v26, s[20:23], null offen
	buffer_load_u16 v28, v28, s[20:23], null offen
	buffer_load_u16 v34, v30, s[20:23], null offen
	buffer_load_u16 v36, v32, s[20:23], null offen
	.loc	1 13 75 is_stmt 0               ; cross_entropy.py:13:75
	s_wait_loadcnt 0xf
	v_cvt_f32_f16_e32 v2, v2
	s_wait_loadcnt 0xe
	v_cvt_f32_f16_e32 v30, v4
	;; [unrolled: 2-line block ×4, first 2 shown]
	.loc	1 13 21                         ; cross_entropy.py:13:21
	v_cndmask_b32_e32 v4, 0xff800000, v2, vcc_lo
	v_cndmask_b32_e64 v6, 0xff800000, v30, s2
	.loc	1 13 75                         ; cross_entropy.py:13:75
	s_wait_loadcnt 0xb
	v_cvt_f32_f16_e32 v2, v10
	s_wait_loadcnt 0xa
	v_cvt_f32_f16_e32 v30, v12
	.loc	1 13 21                         ; cross_entropy.py:13:21
	v_cndmask_b32_e64 v8, 0xff800000, v32, s3
	v_cndmask_b32_e64 v10, 0xff800000, v35, s4
.Ltmp1:
	.file	2 "/root/.local/lib/python3.13/site-packages/triton/language" "standard.py"
	.loc	2 170 27 is_stmt 1              ; standard.py:170:27 @[ standard.py:191:40 @[ cross_entropy.py:14:23 ] ]
	v_max_num_f32_e32 v32, v4, v6
.Ltmp2:
	.loc	1 13 75                         ; cross_entropy.py:13:75
	s_wait_loadcnt 0x9
	v_cvt_f32_f16_e32 v35, v14
	s_wait_loadcnt 0x8
	v_cvt_f32_f16_e32 v37, v16
	.loc	1 13 21 is_stmt 0               ; cross_entropy.py:13:21
	v_cndmask_b32_e64 v12, 0xff800000, v2, s5
	v_cndmask_b32_e64 v14, 0xff800000, v30, s6
.Ltmp3:
	.loc	2 170 27 is_stmt 1              ; standard.py:170:27 @[ standard.py:191:40 @[ cross_entropy.py:14:23 ] ]
	v_max3_num_f32 v2, v32, v8, v10
.Ltmp4:
	.loc	1 13 21                         ; cross_entropy.py:13:21
	v_cndmask_b32_e64 v16, 0xff800000, v35, s7
	v_cndmask_b32_e64 v30, 0xff800000, v37, s8
.Ltmp5:
	.loc	2 191 40                        ; standard.py:191:40 @[ cross_entropy.py:14:23 ]
	v_cmp_eq_u32_e32 vcc_lo, 0, v33
	s_and_b32 s3, s19, 3
.Ltmp6:
	.loc	2 170 27                        ; standard.py:170:27 @[ standard.py:191:40 @[ cross_entropy.py:14:23 ] ]
	v_max3_num_f32 v2, v2, v12, v14
.Ltmp7:
	.loc	2 191 40                        ; standard.py:191:40 @[ cross_entropy.py:14:23 ]
	s_wait_alu depctr_sa_sdst(0)
	s_lshl2_add_u32 s20, s3, 0
.Ltmp8:
	.loc	1 13 75                         ; cross_entropy.py:13:75
	s_wait_loadcnt 0x7
	v_cvt_f32_f16_e32 v18, v18
	s_wait_loadcnt 0x6
	v_cvt_f32_f16_e32 v20, v20
	;; [unrolled: 2-line block ×4, first 2 shown]
.Ltmp9:
	.loc	2 170 27                        ; standard.py:170:27 @[ standard.py:191:40 @[ cross_entropy.py:14:23 ] ]
	v_max3_num_f32 v2, v2, v16, v30
.Ltmp10:
	.loc	1 13 21                         ; cross_entropy.py:13:21
	v_cndmask_b32_e64 v32, 0xff800000, v18, s9
	v_cndmask_b32_e64 v35, 0xff800000, v20, s10
	;; [unrolled: 1-line block ×4, first 2 shown]
	s_delay_alu instid0(VALU_DEP_3)
.Ltmp11:
	.loc	2 170 27                        ; standard.py:170:27 @[ standard.py:191:40 @[ cross_entropy.py:14:23 ] ]
	v_max3_num_f32 v2, v2, v32, v35
.Ltmp12:
	.loc	1 13 75                         ; cross_entropy.py:13:75
	s_wait_loadcnt 0x3
	v_cvt_f32_f16_e32 v18, v26
	s_wait_loadcnt 0x2
	v_cvt_f32_f16_e32 v20, v28
	;; [unrolled: 2-line block ×4, first 2 shown]
.Ltmp13:
	.loc	2 170 27                        ; standard.py:170:27 @[ standard.py:191:40 @[ cross_entropy.py:14:23 ] ]
	v_max3_num_f32 v2, v2, v37, v38
.Ltmp14:
	.loc	1 13 21                         ; cross_entropy.py:13:21
	v_cndmask_b32_e64 v39, 0xff800000, v18, s13
	v_cndmask_b32_e64 v40, 0xff800000, v20, s14
	;; [unrolled: 1-line block ×4, first 2 shown]
	s_delay_alu instid0(VALU_DEP_3) | instskip(NEXT) | instid1(VALU_DEP_1)
.Ltmp15:
	.loc	2 170 27                        ; standard.py:170:27 @[ standard.py:191:40 @[ cross_entropy.py:14:23 ] ]
	v_max3_num_f32 v2, v2, v39, v40
	v_max3_num_f32 v2, v2, v41, v42
	s_delay_alu instid0(VALU_DEP_1) | instskip(NEXT) | instid1(VALU_DEP_1)
.Ltmp16:
	.loc	2 191 40                        ; standard.py:191:40 @[ cross_entropy.py:14:23 ]
	v_mov_b32_dpp v18, v2 row_shr:8 row_mask:0xf bank_mask:0xf bound_ctrl:1
.Ltmp17:
	.loc	2 170 27                        ; standard.py:170:27 @[ standard.py:191:40 @[ cross_entropy.py:14:23 ] ]
	v_max_num_f32_e32 v18, v18, v18
	s_delay_alu instid0(VALU_DEP_1) | instskip(NEXT) | instid1(VALU_DEP_1)
	v_max_num_f32_e32 v2, v2, v18
.Ltmp18:
	.loc	2 191 40                        ; standard.py:191:40 @[ cross_entropy.py:14:23 ]
	v_mov_b32_dpp v18, v2 row_shr:4 row_mask:0xf bank_mask:0xf bound_ctrl:1
	s_delay_alu instid0(VALU_DEP_1) | instskip(NEXT) | instid1(VALU_DEP_1)
.Ltmp19:
	.loc	2 170 27                        ; standard.py:170:27 @[ standard.py:191:40 @[ cross_entropy.py:14:23 ] ]
	v_max_num_f32_e32 v18, v18, v18
	v_max_num_f32_e32 v2, v2, v18
	s_delay_alu instid0(VALU_DEP_1) | instskip(NEXT) | instid1(VALU_DEP_1)
.Ltmp20:
	.loc	2 191 40                        ; standard.py:191:40 @[ cross_entropy.py:14:23 ]
	v_mov_b32_dpp v18, v2 row_shr:2 row_mask:0xf bank_mask:0xf bound_ctrl:1
.Ltmp21:
	.loc	2 170 27                        ; standard.py:170:27 @[ standard.py:191:40 @[ cross_entropy.py:14:23 ] ]
	v_max_num_f32_e32 v18, v18, v18
	s_delay_alu instid0(VALU_DEP_1) | instskip(NEXT) | instid1(VALU_DEP_1)
	v_max_num_f32_e32 v2, v2, v18
.Ltmp22:
	.loc	2 191 40                        ; standard.py:191:40 @[ cross_entropy.py:14:23 ]
	v_mov_b32_dpp v18, v2 row_shr:1 row_mask:0xf bank_mask:0xf bound_ctrl:1
	s_delay_alu instid0(VALU_DEP_1) | instskip(NEXT) | instid1(VALU_DEP_1)
.Ltmp23:
	.loc	2 170 27                        ; standard.py:170:27 @[ standard.py:191:40 @[ cross_entropy.py:14:23 ] ]
	v_max_num_f32_e32 v18, v18, v18
	v_max_num_f32_e32 v2, v2, v18
	s_delay_alu instid0(VALU_DEP_1) | instskip(NEXT) | instid1(VALU_DEP_1)
.Ltmp24:
	.loc	2 191 40                        ; standard.py:191:40 @[ cross_entropy.py:14:23 ]
	v_permlanex16_b32 v18, v2, -1, -1 op_sel:[1,0]
.Ltmp25:
	.loc	2 170 27                        ; standard.py:170:27 @[ standard.py:191:40 @[ cross_entropy.py:14:23 ] ]
	v_max_num_f32_e32 v18, v18, v18
	s_delay_alu instid0(VALU_DEP_1) | instskip(NEXT) | instid1(VALU_DEP_1)
	v_max_num_f32_e32 v2, v2, v18
.Ltmp26:
	.loc	2 191 40                        ; standard.py:191:40 @[ cross_entropy.py:14:23 ]
	v_readlane_b32 s2, v2, 31
	s_and_saveexec_b32 s3, vcc_lo
; %bb.1:
	v_mov_b32_e32 v2, s20
	s_wait_alu depctr_va_sdst(0)
	v_mov_b32_e32 v18, s2
	ds_store_b32 v2, v18
; %bb.2:
	.loc	2 0 40 is_stmt 0                ; standard.py:0:40
	s_wait_alu depctr_sa_sdst(0)
	s_or_b32 exec_lo, exec_lo, s3
	.loc	2 191 40                        ; standard.py:191:40 @[ cross_entropy.py:14:23 ]
	s_wait_dscnt 0x0
	s_barrier_signal -1
	v_cmp_gt_u32_e64 s2, 4, v0
	v_lshl_add_u32 v34, v0, 2, 0
	v_mov_b32_e32 v2, 0
	s_barrier_wait -1
	global_inv scope:SCOPE_SE
	s_and_saveexec_b32 s3, s2
; %bb.3:
	ds_load_b32 v2, v34
; %bb.4:
	.loc	2 0 40                          ; standard.py:0:40
	s_wait_alu depctr_sa_sdst(0)
	s_or_b32 exec_lo, exec_lo, s3
.Ltmp27:
	.loc	2 170 27 is_stmt 1              ; standard.py:170:27 @[ standard.py:191:40 @[ cross_entropy.py:14:23 ] ]
	s_wait_dscnt 0x0
	v_max_num_f32_e32 v18, v2, v2
.Ltmp28:
	.loc	2 191 40                        ; standard.py:191:40 @[ cross_entropy.py:14:23 ]
	v_mov_b32_dpp v2, v2 quad_perm:[2,3,0,1] row_mask:0xf bank_mask:0xf
	s_delay_alu instid0(VALU_DEP_1) | instskip(NEXT) | instid1(VALU_DEP_1)
.Ltmp29:
	.loc	2 170 27                        ; standard.py:170:27 @[ standard.py:191:40 @[ cross_entropy.py:14:23 ] ]
	v_max_num_f32_e32 v2, v2, v2
	v_max_num_f32_e32 v2, v18, v2
.Ltmp30:
	.loc	2 191 40                        ; standard.py:191:40 @[ cross_entropy.py:14:23 ]
	v_and_b32_e32 v18, 3, v0
	s_delay_alu instid0(VALU_DEP_2) | instskip(NEXT) | instid1(VALU_DEP_2)
	v_mov_b32_e32 v0, v2
	v_cmp_eq_u32_e64 s3, 0, v18
	s_delay_alu instid0(VALU_DEP_2)
	v_mov_b32_dpp v0, v0 quad_perm:[1,0,3,2] row_mask:0xf bank_mask:0xf
	s_and_b32 s21, s2, s3
	s_wait_alu depctr_sa_sdst(0)
	s_and_saveexec_b32 s3, s21
	s_cbranch_execz .LBB0_6
; %bb.5:
	.loc	2 0 40 is_stmt 0                ; standard.py:0:40
	v_max_num_f32_e32 v0, v0, v0
	v_max_num_f32_e32 v2, v2, v2
	s_delay_alu instid0(VALU_DEP_1)
	v_max_num_f32_e32 v0, v2, v0
	.loc	2 191 40                        ; standard.py:191:40 @[ cross_entropy.py:14:23 ]
	ds_store_b32 v34, v0
.LBB0_6:
	.loc	2 0 40                          ; standard.py:0:40
	s_wait_alu depctr_sa_sdst(0)
	s_or_b32 exec_lo, exec_lo, s3
	.loc	2 191 40                        ; standard.py:191:40 @[ cross_entropy.py:14:23 ]
	s_wait_loadcnt_dscnt 0x0
	s_barrier_signal -1
	v_mov_b32_e32 v2, 0
	s_barrier_wait -1
	global_inv scope:SCOPE_SE
	ds_load_b32 v0, v2
.Ltmp31:
	.loc	1 15 23 is_stmt 1               ; cross_entropy.py:15:23
	s_wait_dscnt 0x0
	v_sub_f32_e32 v20, v14, v0
	v_sub_f32_e32 v14, v32, v0
	;; [unrolled: 1-line block ×7, first 2 shown]
	s_delay_alu instid0(VALU_DEP_4) | instskip(NEXT) | instid1(VALU_DEP_2)
	v_dual_sub_f32 v18, v16, v0 :: v_dual_mul_f32 v45, 0x3fb8aa3b, v10
	v_dual_sub_f32 v28, v6, v0 :: v_dual_mul_f32 v49, 0x3fb8aa3b, v35
	s_delay_alu instid0(VALU_DEP_2) | instskip(SKIP_1) | instid1(VALU_DEP_4)
	v_dual_sub_f32 v26, v8, v0 :: v_dual_mul_f32 v41, 0x3fb8aa3b, v18
	v_sub_f32_e32 v36, v4, v0
	.loc	1 16 39                         ; cross_entropy.py:16:39
	v_cmp_gt_f32_e64 s13, 0xc2fc0000, v45
	s_delay_alu instid0(VALU_DEP_4) | instskip(NEXT) | instid1(VALU_DEP_4)
	v_cmp_gt_f32_e64 s17, 0xc2fc0000, v49
	v_mul_f32_e32 v37, 0x3fb8aa3b, v26
	v_cmp_gt_f32_e64 s9, 0xc2fc0000, v41
	s_wait_alu depctr_va_sdst(0)
	v_cndmask_b32_e64 v45, 0, 0x42800000, s13
	v_cndmask_b32_e64 v49, 0, 0x42800000, s17
	.loc	1 15 23                         ; cross_entropy.py:15:23
	v_dual_sub_f32 v6, v39, v0 :: v_dual_mul_f32 v39, 0x3fb8aa3b, v22
	.loc	1 16 39                         ; cross_entropy.py:16:39
	v_cmp_gt_f32_e64 s5, 0xc2fc0000, v37
	s_delay_alu instid0(VALU_DEP_3) | instskip(NEXT) | instid1(VALU_DEP_3)
	v_dual_mul_f32 v32, 0x3fb8aa3b, v28 :: v_dual_fmac_f32 v49, 0x3fb8aa3b, v35
	v_mul_f32_e32 v47, 0x3fb8aa3b, v6
	s_delay_alu instid0(VALU_DEP_4)
	v_cmp_gt_f32_e64 s7, 0xc2fc0000, v39
	s_wait_alu depctr_va_sdst(0)
	v_cndmask_b32_e64 v37, 0, 0x42800000, s5
	.loc	1 15 23                         ; cross_entropy.py:15:23
	v_sub_f32_e32 v16, v30, v0
	.loc	1 16 39                         ; cross_entropy.py:16:39
	v_mul_f32_e32 v30, 0x3fb8aa3b, v36
	v_cmp_gt_f32_e64 s4, 0xc2fc0000, v32
	v_cndmask_b32_e64 v39, 0, 0x42800000, s7
	v_cmp_gt_f32_e64 s15, 0xc2fc0000, v47
	v_fmac_f32_e32 v37, 0x3fb8aa3b, v26
	v_cmp_gt_f32_e64 s3, 0xc2fc0000, v30
	s_wait_alu depctr_va_sdst(0)
	v_cndmask_b32_e64 v32, 0, 0x42800000, s4
	v_fmac_f32_e32 v39, 0x3fb8aa3b, v22
	v_mul_f32_e32 v43, 0x3fb8aa3b, v14
	v_cndmask_b32_e64 v47, 0, 0x42800000, s15
	v_cndmask_b32_e64 v30, 0, 0x42800000, s3
	v_fmac_f32_e32 v32, 0x3fb8aa3b, v28
	.loc	1 15 23                         ; cross_entropy.py:15:23
	v_sub_f32_e32 v4, v40, v0
	.loc	1 16 39                         ; cross_entropy.py:16:39
	v_cmp_gt_f32_e64 s11, 0xc2fc0000, v43
	v_mul_f32_e32 v40, 0x3fb8aa3b, v20
	v_fmac_f32_e32 v30, 0x3fb8aa3b, v36
	v_exp_f32_e32 v32, v32
	v_cndmask_b32_e64 v51, 0, 0xffffffc0, s3
	s_wait_alu depctr_va_sdst(0)
	v_cndmask_b32_e64 v43, 0, 0x42800000, s11
	v_cmp_gt_f32_e64 s8, 0xc2fc0000, v40
	v_exp_f32_e32 v30, v30
	v_exp_f32_e32 v37, v37
	v_cndmask_b32_e64 v52, 0, 0xffffffc0, s4
	v_dual_fmac_f32 v43, 0x3fb8aa3b, v14 :: v_dual_sub_f32 v8, v38, v0
	v_dual_fmac_f32 v45, 0x3fb8aa3b, v10 :: v_dual_mul_f32 v38, 0x3fb8aa3b, v24
	.loc	1 15 23                         ; cross_entropy.py:15:23
	v_sub_f32_e32 v0, v42, v0
	.loc	1 16 39                         ; cross_entropy.py:16:39
	v_mul_f32_e32 v42, 0x3fb8aa3b, v16
	s_wait_alu depctr_va_sdst(0)
	v_cndmask_b32_e64 v40, 0, 0x42800000, s8
	v_cndmask_b32_e64 v53, 0, 0xffffffc0, s5
	v_cmp_gt_f32_e64 s6, 0xc2fc0000, v38
	v_ldexp_f32 v30, v30, v51
	v_ldexp_f32 v32, v32, v52
	v_cndmask_b32_e64 v41, 0, 0x42800000, s9
	v_cmp_gt_f32_e64 s10, 0xc2fc0000, v42
	s_wait_alu depctr_va_sdst(0)
	v_cndmask_b32_e64 v38, 0, 0x42800000, s6
	v_cndmask_b32_e64 v51, 0, 0xffffffc0, s6
	v_fmac_f32_e32 v40, 0x3fb8aa3b, v20
	v_exp_f32_e32 v39, v39
	v_ldexp_f32 v37, v37, v53
	v_fmac_f32_e32 v38, 0x3fb8aa3b, v24
.Ltmp32:
	.loc	2 263 15                        ; standard.py:263:15 @[ standard.py:293:36 @[ cross_entropy.py:16:32 ] ]
	v_add_f32_e32 v30, v30, v32
.Ltmp33:
	.loc	1 16 39                         ; cross_entropy.py:16:39
	v_cndmask_b32_e64 v42, 0, 0x42800000, s10
	v_cndmask_b32_e64 v32, 0, 0xffffffc0, s7
	v_fmac_f32_e32 v41, 0x3fb8aa3b, v18
	v_exp_f32_e32 v38, v38
	v_mul_f32_e32 v44, 0x3fb8aa3b, v12
	v_exp_f32_e32 v40, v40
.Ltmp34:
	.loc	2 263 15                        ; standard.py:263:15 @[ standard.py:293:36 @[ cross_entropy.py:16:32 ] ]
	v_add_f32_e32 v30, v37, v30
.Ltmp35:
	.loc	1 16 39                         ; cross_entropy.py:16:39
	v_cndmask_b32_e64 v37, 0, 0xffffffc0, s8
	v_fmac_f32_e32 v42, 0x3fb8aa3b, v16
	v_cmp_gt_f32_e64 s12, 0xc2fc0000, v44
	v_exp_f32_e32 v41, v41
	v_ldexp_f32 v32, v39, v32
	v_mul_f32_e32 v46, 0x3fb8aa3b, v8
	v_ldexp_f32 v38, v38, v51
	s_wait_alu depctr_va_sdst(0)
	v_cndmask_b32_e64 v44, 0, 0x42800000, s12
	v_exp_f32_e32 v39, v42
	v_ldexp_f32 v37, v40, v37
	v_cmp_gt_f32_e64 s14, 0xc2fc0000, v46
.Ltmp36:
	.loc	2 263 15                        ; standard.py:263:15 @[ standard.py:293:36 @[ cross_entropy.py:16:32 ] ]
	v_add_f32_e32 v30, v38, v30
.Ltmp37:
	.loc	1 16 39                         ; cross_entropy.py:16:39
	v_cndmask_b32_e64 v38, 0, 0xffffffc0, s9
	v_fmac_f32_e32 v44, 0x3fb8aa3b, v12
	v_exp_f32_e32 v40, v43
	s_wait_alu depctr_va_sdst(0)
	v_cndmask_b32_e64 v46, 0, 0x42800000, s14
.Ltmp38:
	.loc	2 263 15                        ; standard.py:263:15 @[ standard.py:293:36 @[ cross_entropy.py:16:32 ] ]
	v_add_f32_e32 v30, v32, v30
.Ltmp39:
	.loc	1 16 39                         ; cross_entropy.py:16:39
	v_cndmask_b32_e64 v32, 0, 0xffffffc0, s10
	v_ldexp_f32 v38, v41, v38
	v_exp_f32_e32 v41, v44
	v_fmac_f32_e32 v47, 0x3fb8aa3b, v6
.Ltmp40:
	.loc	2 263 15                        ; standard.py:263:15 @[ standard.py:293:36 @[ cross_entropy.py:16:32 ] ]
	v_add_f32_e32 v30, v37, v30
.Ltmp41:
	.loc	1 16 39                         ; cross_entropy.py:16:39
	v_mul_f32_e32 v48, 0x3fb8aa3b, v4
	v_cndmask_b32_e64 v37, 0, 0xffffffc0, s11
	v_ldexp_f32 v32, v39, v32
	v_fmac_f32_e32 v46, 0x3fb8aa3b, v8
.Ltmp42:
	.loc	2 263 15                        ; standard.py:263:15 @[ standard.py:293:36 @[ cross_entropy.py:16:32 ] ]
	v_add_f32_e32 v30, v38, v30
.Ltmp43:
	.loc	1 16 39                         ; cross_entropy.py:16:39
	v_cmp_gt_f32_e64 s16, 0xc2fc0000, v48
	v_cndmask_b32_e64 v38, 0, 0xffffffc0, s12
	v_exp_f32_e32 v39, v45
	v_ldexp_f32 v37, v40, v37
.Ltmp44:
	.loc	2 263 15                        ; standard.py:263:15 @[ standard.py:293:36 @[ cross_entropy.py:16:32 ] ]
	v_add_f32_e32 v30, v32, v30
.Ltmp45:
	.loc	1 16 39                         ; cross_entropy.py:16:39
	v_mul_f32_e32 v50, 0x3fb8aa3b, v0
	s_wait_alu depctr_va_sdst(0)
	v_cndmask_b32_e64 v48, 0, 0x42800000, s16
	v_cndmask_b32_e64 v32, 0, 0xffffffc0, s13
	v_exp_f32_e32 v40, v46
	v_ldexp_f32 v38, v41, v38
.Ltmp46:
	.loc	2 263 15                        ; standard.py:263:15 @[ standard.py:293:36 @[ cross_entropy.py:16:32 ] ]
	v_add_f32_e32 v30, v37, v30
.Ltmp47:
	.loc	1 16 39                         ; cross_entropy.py:16:39
	v_cmp_gt_f32_e64 s18, 0xc2fc0000, v50
	v_cndmask_b32_e64 v37, 0, 0xffffffc0, s14
	v_fmac_f32_e32 v48, 0x3fb8aa3b, v4
	v_exp_f32_e32 v41, v47
	v_ldexp_f32 v32, v39, v32
.Ltmp48:
	.loc	2 263 15                        ; standard.py:263:15 @[ standard.py:293:36 @[ cross_entropy.py:16:32 ] ]
	v_add_f32_e32 v30, v38, v30
.Ltmp49:
	.loc	1 16 39                         ; cross_entropy.py:16:39
	v_cndmask_b32_e64 v50, 0, 0x42800000, s18
	v_cndmask_b32_e64 v38, 0, 0xffffffc0, s15
	v_exp_f32_e32 v39, v48
	v_ldexp_f32 v37, v40, v37
.Ltmp50:
	.loc	2 263 15                        ; standard.py:263:15 @[ standard.py:293:36 @[ cross_entropy.py:16:32 ] ]
	v_add_f32_e32 v30, v32, v30
.Ltmp51:
	.loc	1 16 39                         ; cross_entropy.py:16:39
	v_cndmask_b32_e64 v32, 0, 0xffffffc0, s16
	v_fmac_f32_e32 v50, 0x3fb8aa3b, v0
	v_exp_f32_e32 v40, v49
	v_ldexp_f32 v38, v41, v38
.Ltmp52:
	.loc	2 263 15                        ; standard.py:263:15 @[ standard.py:293:36 @[ cross_entropy.py:16:32 ] ]
	v_add_f32_e32 v30, v37, v30
.Ltmp53:
	.loc	1 16 39                         ; cross_entropy.py:16:39
	v_cndmask_b32_e64 v37, 0, 0xffffffc0, s17
	v_exp_f32_e32 v41, v50
	v_ldexp_f32 v32, v39, v32
	s_delay_alu instid0(VALU_DEP_3) | instskip(SKIP_1) | instid1(TRANS32_DEP_2)
.Ltmp54:
	.loc	2 263 15                        ; standard.py:263:15 @[ standard.py:293:36 @[ cross_entropy.py:16:32 ] ]
	v_add_f32_e32 v30, v38, v30
.Ltmp55:
	.loc	1 16 39                         ; cross_entropy.py:16:39
	v_cndmask_b32_e64 v38, 0, 0xffffffc0, s18
	v_ldexp_f32 v37, v40, v37
	s_delay_alu instid0(VALU_DEP_3)
.Ltmp56:
	.loc	2 263 15                        ; standard.py:263:15 @[ standard.py:293:36 @[ cross_entropy.py:16:32 ] ]
	v_add_f32_e32 v30, v32, v30
	s_delay_alu instid0(TRANS32_DEP_1) | instid1(VALU_DEP_3)
.Ltmp57:
	.loc	1 16 39                         ; cross_entropy.py:16:39
	v_ldexp_f32 v32, v41, v38
	s_delay_alu instid0(VALU_DEP_2) | instskip(NEXT) | instid1(VALU_DEP_1)
.Ltmp58:
	.loc	2 263 15                        ; standard.py:263:15 @[ standard.py:293:36 @[ cross_entropy.py:16:32 ] ]
	v_add_f32_e32 v30, v37, v30
	v_add_f32_e32 v30, v32, v30
	s_delay_alu instid0(VALU_DEP_1) | instskip(NEXT) | instid1(VALU_DEP_1)
	v_add_f32_dpp v30, v30, v30 row_shr:8 row_mask:0xf bank_mask:0xf bound_ctrl:1
	v_add_f32_dpp v30, v30, v30 row_shr:4 row_mask:0xf bank_mask:0xf bound_ctrl:1
	s_delay_alu instid0(VALU_DEP_1) | instskip(NEXT) | instid1(VALU_DEP_1)
	v_add_f32_dpp v30, v30, v30 row_shr:2 row_mask:0xf bank_mask:0xf bound_ctrl:1
	v_add_f32_dpp v30, v30, v30 row_shr:1 row_mask:0xf bank_mask:0xf bound_ctrl:1
	s_delay_alu instid0(VALU_DEP_1) | instskip(NEXT) | instid1(VALU_DEP_1)
.Ltmp59:
	.loc	2 293 36                        ; standard.py:293:36 @[ cross_entropy.py:16:32 ]
	v_permlanex16_b32 v32, v30, -1, -1 op_sel:[1,0]
.Ltmp60:
	.loc	2 263 15                        ; standard.py:263:15 @[ standard.py:293:36 @[ cross_entropy.py:16:32 ] ]
	v_add_f32_e32 v30, v30, v32
	s_delay_alu instid0(VALU_DEP_1)
.Ltmp61:
	.loc	2 293 36                        ; standard.py:293:36 @[ cross_entropy.py:16:32 ]
	v_readlane_b32 s4, v30, 31
	s_wait_loadcnt 0x0
	s_barrier_signal -1
	s_barrier_wait -1
	global_inv scope:SCOPE_SE
	s_and_saveexec_b32 s3, vcc_lo
; %bb.7:
	v_mov_b32_e32 v30, s20
	s_wait_alu depctr_va_sdst(0)
	v_mov_b32_e32 v32, s4
	ds_store_b32 v30, v32
; %bb.8:
	.loc	2 0 36 is_stmt 0                ; standard.py:0:36
	s_wait_alu depctr_sa_sdst(0)
	s_or_b32 exec_lo, exec_lo, s3
	.loc	2 293 36                        ; standard.py:293:36 @[ cross_entropy.py:16:32 ]
	s_wait_loadcnt_dscnt 0x0
	s_barrier_signal -1
	s_barrier_wait -1
	global_inv scope:SCOPE_SE
	s_and_saveexec_b32 s3, s2
; %bb.9:
	ds_load_b32 v2, v34
; %bb.10:
	.loc	2 0 36                          ; standard.py:0:36
	s_wait_alu depctr_sa_sdst(0)
	s_or_b32 exec_lo, exec_lo, s3
	.loc	2 293 36                        ; standard.py:293:36 @[ cross_entropy.py:16:32 ]
	s_wait_dscnt 0x0
	v_mov_b32_e32 v30, v2
	s_load_b64 s[4:5], s[0:1], 0x8
	s_delay_alu instid0(VALU_DEP_1) | instskip(NEXT) | instid1(VALU_DEP_1)
	v_mov_b32_dpp v30, v30 quad_perm:[2,3,0,1] row_mask:0xf bank_mask:0xf
.Ltmp62:
	.loc	2 263 15 is_stmt 1              ; standard.py:263:15 @[ standard.py:293:36 @[ cross_entropy.py:16:32 ] ]
	v_add_f32_e32 v2, v2, v30
	s_delay_alu instid0(VALU_DEP_1) | instskip(NEXT) | instid1(VALU_DEP_1)
.Ltmp63:
	.loc	2 293 36                        ; standard.py:293:36 @[ cross_entropy.py:16:32 ]
	v_mov_b32_e32 v30, v2
	v_mov_b32_dpp v30, v30 quad_perm:[1,0,3,2] row_mask:0xf bank_mask:0xf
	s_and_saveexec_b32 s3, s21
; %bb.11:
	.loc	2 0 36 is_stmt 0                ; standard.py:0:36
	s_delay_alu instid0(VALU_DEP_1)
	v_add_f32_e32 v2, v2, v30
	.loc	2 293 36                        ; standard.py:293:36 @[ cross_entropy.py:16:32 ]
	ds_store_b32 v34, v2
; %bb.12:
	.loc	2 0 36                          ; standard.py:0:36
	s_wait_alu depctr_sa_sdst(0)
	s_or_b32 exec_lo, exec_lo, s3
	.loc	2 293 36                        ; standard.py:293:36 @[ cross_entropy.py:16:32 ]
	s_wait_loadcnt_dscnt 0x0
	s_barrier_signal -1
.Ltmp64:
	.loc	1 17 35 is_stmt 1               ; cross_entropy.py:17:35
	s_ashr_i32 s25, s24, 31
.Ltmp65:
	.loc	2 293 36                        ; standard.py:293:36 @[ cross_entropy.py:16:32 ]
	v_mov_b32_e32 v2, 0
.Ltmp66:
	.loc	1 17 35                         ; cross_entropy.py:17:35
	s_lshl_b64 s[6:7], s[24:25], 3
	s_wait_kmcnt 0x0
	s_wait_alu depctr_sa_sdst(0)
	s_add_nc_u64 s[4:5], s[4:5], s[6:7]
	.loc	1 18 43                         ; cross_entropy.py:18:43
	v_mov_b32_e32 v32, v2
.Ltmp67:
	.loc	2 293 36                        ; standard.py:293:36 @[ cross_entropy.py:16:32 ]
	s_barrier_wait -1
	global_inv scope:SCOPE_SE
.Ltmp68:
	.loc	1 17 21                         ; cross_entropy.py:17:21
	s_load_b64 s[4:5], s[4:5], 0x0
	.loc	1 18 43                         ; cross_entropy.py:18:43
	s_wait_kmcnt 0x0
	v_cmp_eq_u64_e64 s3, s[4:5], v[1:2]
	.loc	1 18 60 is_stmt 0               ; cross_entropy.py:18:60
	s_wait_alu depctr_va_sdst(0)
	s_delay_alu instid0(VALU_DEP_1) | instskip(SKIP_2) | instid1(VALU_DEP_1)
	v_cndmask_b32_e64 v1, 0, v36, s3
	.loc	1 18 43                         ; cross_entropy.py:18:43
	v_cmp_eq_u64_e64 s3, s[4:5], v[31:32]
	.loc	1 18 60                         ; cross_entropy.py:18:60
	s_wait_alu depctr_va_sdst(0)
	v_cndmask_b32_e64 v31, 0, v28, s3
	s_delay_alu instid0(VALU_DEP_1) | instskip(SKIP_3) | instid1(VALU_DEP_2)
.Ltmp69:
	.loc	2 263 15 is_stmt 1              ; standard.py:263:15 @[ standard.py:293:36 @[ cross_entropy.py:18:26 ] ]
	v_add_f32_e32 v1, v1, v31
.Ltmp70:
	.loc	2 293 36                        ; standard.py:293:36 @[ cross_entropy.py:16:32 ]
	ds_load_b32 v37, v2
.Ltmp71:
	.loc	1 18 43                         ; cross_entropy.py:18:43
	v_mov_b32_e32 v30, v2
	v_mov_b32_e32 v28, v2
	v_cmp_eq_u64_e64 s3, s[4:5], v[29:30]
	.loc	1 18 60 is_stmt 0               ; cross_entropy.py:18:60
	s_wait_alu depctr_va_sdst(0)
	s_delay_alu instid0(VALU_DEP_1) | instskip(NEXT) | instid1(VALU_DEP_3)
	v_cndmask_b32_e64 v29, 0, v26, s3
	.loc	1 18 43                         ; cross_entropy.py:18:43
	v_cmp_eq_u64_e64 s3, s[4:5], v[27:28]
	s_delay_alu instid0(VALU_DEP_2) | instskip(SKIP_1) | instid1(VALU_DEP_2)
	v_dual_mov_b32 v26, v2 :: v_dual_add_f32 v1, v29, v1
	.loc	1 18 60                         ; cross_entropy.py:18:60
	s_wait_alu depctr_va_sdst(0)
	v_cndmask_b32_e64 v27, 0, v24, s3
	s_delay_alu instid0(VALU_DEP_2) | instskip(NEXT) | instid1(VALU_DEP_2)
	.loc	1 18 43                         ; cross_entropy.py:18:43
	v_cmp_eq_u64_e64 s3, s[4:5], v[25:26]
	v_dual_mov_b32 v24, v2 :: v_dual_add_f32 v1, v27, v1
	.loc	1 18 60                         ; cross_entropy.py:18:60
	s_wait_alu depctr_va_sdst(0)
	s_delay_alu instid0(VALU_DEP_2) | instskip(NEXT) | instid1(VALU_DEP_2)
	v_cndmask_b32_e64 v25, 0, v22, s3
	.loc	1 18 43                         ; cross_entropy.py:18:43
	v_cmp_eq_u64_e64 s3, s[4:5], v[23:24]
	s_delay_alu instid0(VALU_DEP_2) | instskip(SKIP_1) | instid1(VALU_DEP_2)
	v_dual_mov_b32 v22, v2 :: v_dual_add_f32 v1, v25, v1
	.loc	1 18 60                         ; cross_entropy.py:18:60
	s_wait_alu depctr_va_sdst(0)
	v_cndmask_b32_e64 v23, 0, v20, s3
	s_delay_alu instid0(VALU_DEP_2) | instskip(NEXT) | instid1(VALU_DEP_2)
	.loc	1 18 43                         ; cross_entropy.py:18:43
	v_cmp_eq_u64_e64 s3, s[4:5], v[21:22]
	v_dual_mov_b32 v20, v2 :: v_dual_add_f32 v1, v23, v1
	.loc	1 18 60                         ; cross_entropy.py:18:60
	s_wait_alu depctr_va_sdst(0)
	s_delay_alu instid0(VALU_DEP_2) | instskip(NEXT) | instid1(VALU_DEP_2)
	;; [unrolled: 15-line block ×6, first 2 shown]
	v_cndmask_b32_e64 v5, 0, v35, s3
	.loc	1 18 43                         ; cross_entropy.py:18:43
	v_cmp_eq_u64_e64 s3, s[4:5], v[3:4]
	s_delay_alu instid0(VALU_DEP_2) | instskip(SKIP_1) | instid1(VALU_DEP_2)
.Ltmp72:
	.loc	2 263 15 is_stmt 1              ; standard.py:263:15 @[ standard.py:293:36 @[ cross_entropy.py:18:26 ] ]
	v_add_f32_e32 v1, v5, v1
.Ltmp73:
	.loc	1 18 60                         ; cross_entropy.py:18:60
	s_wait_alu depctr_va_sdst(0)
	v_cndmask_b32_e64 v0, 0, v0, s3
	.loc	1 16 25                         ; cross_entropy.py:16:25
	s_wait_dscnt 0x0
	v_cmp_gt_f32_e64 s3, 0x800000, v37
	s_delay_alu instid0(VALU_DEP_2) | instskip(SKIP_1) | instid1(VALU_DEP_2)
.Ltmp74:
	.loc	2 263 15                        ; standard.py:263:15 @[ standard.py:293:36 @[ cross_entropy.py:18:26 ] ]
	v_add_f32_e32 v0, v0, v1
.Ltmp75:
	.loc	1 16 25                         ; cross_entropy.py:16:25
	s_wait_alu depctr_va_sdst(0)
	v_cndmask_b32_e64 v1, 1.0, 0x4f800000, s3
	s_delay_alu instid0(VALU_DEP_2) | instskip(NEXT) | instid1(VALU_DEP_2)
.Ltmp76:
	.loc	2 263 15                        ; standard.py:263:15 @[ standard.py:293:36 @[ cross_entropy.py:18:26 ] ]
	v_add_f32_dpp v0, v0, v0 row_shr:8 row_mask:0xf bank_mask:0xf bound_ctrl:1
.Ltmp77:
	.loc	1 16 25                         ; cross_entropy.py:16:25
	v_mul_f32_e32 v1, v37, v1
	s_delay_alu instid0(VALU_DEP_2) | instskip(NEXT) | instid1(VALU_DEP_1)
.Ltmp78:
	.loc	2 263 15                        ; standard.py:263:15 @[ standard.py:293:36 @[ cross_entropy.py:18:26 ] ]
	v_add_f32_dpp v0, v0, v0 row_shr:4 row_mask:0xf bank_mask:0xf bound_ctrl:1
	v_add_f32_dpp v3, v0, v0 row_shr:2 row_mask:0xf bank_mask:0xf bound_ctrl:1
	s_delay_alu instid0(VALU_DEP_3) | instskip(NEXT) | instid1(VALU_DEP_1)
.Ltmp79:
	.loc	1 16 25                         ; cross_entropy.py:16:25
	v_log_f32_e32 v0, v1
.Ltmp80:
	.loc	2 263 15                        ; standard.py:263:15 @[ standard.py:293:36 @[ cross_entropy.py:18:26 ] ]
	v_add_f32_dpp v1, v3, v3 row_shr:1 row_mask:0xf bank_mask:0xf bound_ctrl:1
	s_delay_alu instid0(VALU_DEP_1)
.Ltmp81:
	.loc	2 293 36                        ; standard.py:293:36 @[ cross_entropy.py:18:26 ]
	v_permlanex16_b32 v3, v1, -1, -1 op_sel:[1,0]
	s_delay_alu instid0(TRANS32_DEP_1) | instid1(VALU_DEP_1)
.Ltmp82:
	.loc	2 263 15                        ; standard.py:263:15 @[ standard.py:293:36 @[ cross_entropy.py:18:26 ] ]
	v_dual_add_f32 v1, v1, v3 :: v_dual_and_b32 v4, 0x7fffffff, v0
	s_delay_alu instid0(VALU_DEP_1) | instskip(NEXT) | instid1(VALU_DEP_2)
.Ltmp83:
	.loc	1 16 25                         ; cross_entropy.py:16:25
	v_cmp_gt_f32_e64 s4, 0x7f800000, v4
.Ltmp84:
	.loc	2 293 36                        ; standard.py:293:36 @[ cross_entropy.py:18:26 ]
	v_readlane_b32 s6, v1, 31
	s_wait_loadcnt 0x0
	s_barrier_signal -1
	s_barrier_wait -1
	global_inv scope:SCOPE_SE
	s_and_saveexec_b32 s5, vcc_lo
; %bb.13:
	v_mov_b32_e32 v1, s20
	s_wait_alu depctr_va_sdst(0)
	v_mov_b32_e32 v3, s6
	ds_store_b32 v1, v3
; %bb.14:
	.loc	2 0 36 is_stmt 0                ; standard.py:0:36
	s_wait_alu depctr_sa_sdst(0)
	s_or_b32 exec_lo, exec_lo, s5
	.loc	2 293 36                        ; standard.py:293:36 @[ cross_entropy.py:18:26 ]
	s_wait_loadcnt_dscnt 0x0
	s_barrier_signal -1
	s_barrier_wait -1
	global_inv scope:SCOPE_SE
	s_and_saveexec_b32 s5, s2
; %bb.15:
	ds_load_b32 v2, v34
; %bb.16:
	.loc	2 0 36                          ; standard.py:0:36
	s_wait_alu depctr_sa_sdst(0)
	s_or_b32 exec_lo, exec_lo, s5
	.loc	2 293 36                        ; standard.py:293:36 @[ cross_entropy.py:18:26 ]
	s_wait_dscnt 0x0
	v_mov_b32_e32 v1, v2
	s_delay_alu instid0(VALU_DEP_1) | instskip(NEXT) | instid1(VALU_DEP_1)
	v_mov_b32_dpp v1, v1 quad_perm:[2,3,0,1] row_mask:0xf bank_mask:0xf
.Ltmp85:
	.loc	2 263 15 is_stmt 1              ; standard.py:263:15 @[ standard.py:293:36 @[ cross_entropy.py:18:26 ] ]
	v_add_f32_e32 v1, v2, v1
	s_delay_alu instid0(VALU_DEP_1) | instskip(NEXT) | instid1(VALU_DEP_1)
.Ltmp86:
	.loc	2 293 36                        ; standard.py:293:36 @[ cross_entropy.py:18:26 ]
	v_mov_b32_e32 v2, v1
	v_mov_b32_dpp v2, v2 quad_perm:[1,0,3,2] row_mask:0xf bank_mask:0xf
	s_and_saveexec_b32 s2, s21
; %bb.17:
	.loc	2 0 36 is_stmt 0                ; standard.py:0:36
	s_delay_alu instid0(VALU_DEP_1)
	v_add_f32_e32 v1, v1, v2
	.loc	2 293 36                        ; standard.py:293:36 @[ cross_entropy.py:18:26 ]
	ds_store_b32 v34, v1
; %bb.18:
	.loc	2 0 36                          ; standard.py:0:36
	s_wait_alu depctr_sa_sdst(0)
	s_or_b32 exec_lo, exec_lo, s2
	.loc	2 293 36                        ; standard.py:293:36 @[ cross_entropy.py:18:26 ]
	s_wait_loadcnt_dscnt 0x0
	s_barrier_signal -1
.Ltmp87:
	.loc	1 20 29 is_stmt 1               ; cross_entropy.py:20:29
	v_or_b32_e32 v1, s19, v33
	s_mov_b32 s2, exec_lo
.Ltmp88:
	.loc	2 293 36                        ; standard.py:293:36 @[ cross_entropy.py:18:26 ]
	s_barrier_wait -1
	global_inv scope:SCOPE_SE
.Ltmp89:
	.loc	1 20 29                         ; cross_entropy.py:20:29
	v_cmpx_eq_u32_e32 0, v1
	s_cbranch_execz .LBB0_20
; %bb.19:
	.loc	1 0 29 is_stmt 0                ; cross_entropy.py:0:29
	v_dual_mul_f32 v1, 0x3f317217, v0 :: v_dual_mov_b32 v2, 0
	s_load_b64 s[0:1], s[0:1], 0x10
	v_cndmask_b32_e64 v4, 0, 0x41b17218, s3
	s_lshl_b64 s[2:3], s[24:25], 2
	s_delay_alu instid0(VALU_DEP_2) | instskip(SKIP_2) | instid1(VALU_DEP_1)
	v_xor_b32_e32 v1, 0x80000000, v1
.Ltmp90:
	.loc	2 293 36 is_stmt 1              ; standard.py:293:36 @[ cross_entropy.py:18:26 ]
	ds_load_b32 v3, v2
	v_fmac_f32_e32 v1, 0x3f317217, v0
	v_fmamk_f32 v1, v0, 0x3377d1cf, v1
	s_delay_alu instid0(VALU_DEP_1) | instskip(SKIP_3) | instid1(VALU_DEP_1)
	v_fmac_f32_e32 v1, 0x3f317217, v0
	s_wait_kmcnt 0x0
	s_wait_alu depctr_sa_sdst(0)
	s_add_nc_u64 s[0:1], s[0:1], s[2:3]
	v_cndmask_b32_e64 v0, v0, v1, s4
	s_delay_alu instid0(VALU_DEP_1) | instskip(SKIP_1) | instid1(VALU_DEP_1)
	v_sub_f32_e32 v0, v0, v4
.Ltmp91:
	.loc	1 19 25                         ; cross_entropy.py:19:25
	s_wait_dscnt 0x0
	v_sub_f32_e32 v0, v0, v3
	.loc	1 20 29                         ; cross_entropy.py:20:29
	global_store_b32 v2, v0, s[0:1]
.LBB0_20:
	.loc	1 20 4 is_stmt 0                ; cross_entropy.py:20:4
	s_endpgm
.Ltmp92:
	.section	.rodata,"a",@progbits
	.p2align	6, 0x0
	.amdhsa_kernel cross_entropy_kernel
		.amdhsa_group_segment_fixed_size 0
		.amdhsa_private_segment_fixed_size 0
		.amdhsa_kernarg_size 48
		.amdhsa_user_sgpr_count 2
		.amdhsa_user_sgpr_dispatch_ptr 0
		.amdhsa_user_sgpr_queue_ptr 0
		.amdhsa_user_sgpr_kernarg_segment_ptr 1
		.amdhsa_user_sgpr_dispatch_id 0
		.amdhsa_user_sgpr_private_segment_size 0
		.amdhsa_wavefront_size32 1
		.amdhsa_uses_dynamic_stack 0
		.amdhsa_enable_private_segment 0
		.amdhsa_system_sgpr_workgroup_id_x 1
		.amdhsa_system_sgpr_workgroup_id_y 1
		.amdhsa_system_sgpr_workgroup_id_z 1
		.amdhsa_system_sgpr_workgroup_info 0
		.amdhsa_system_vgpr_workitem_id 0
		.amdhsa_next_free_vgpr 54
		.amdhsa_next_free_sgpr 26
		.amdhsa_reserve_vcc 1
		.amdhsa_float_round_mode_32 0
		.amdhsa_float_round_mode_16_64 0
		.amdhsa_float_denorm_mode_32 3
		.amdhsa_float_denorm_mode_16_64 3
		.amdhsa_fp16_overflow 0
		.amdhsa_workgroup_processor_mode 1
		.amdhsa_memory_ordered 1
		.amdhsa_forward_progress 1
		.amdhsa_inst_pref_size 33
		.amdhsa_round_robin_scheduling 0
		.amdhsa_exception_fp_ieee_invalid_op 0
		.amdhsa_exception_fp_denorm_src 0
		.amdhsa_exception_fp_ieee_div_zero 0
		.amdhsa_exception_fp_ieee_overflow 0
		.amdhsa_exception_fp_ieee_underflow 0
		.amdhsa_exception_fp_ieee_inexact 0
		.amdhsa_exception_int_div_zero 0
	.end_amdhsa_kernel
	.text
.Lfunc_end0:
	.size	cross_entropy_kernel, .Lfunc_end0-cross_entropy_kernel
	.cfi_endproc
                                        ; -- End function
	.set cross_entropy_kernel.num_vgpr, 54
	.set cross_entropy_kernel.num_agpr, 0
	.set cross_entropy_kernel.numbered_sgpr, 26
	.set cross_entropy_kernel.num_named_barrier, 0
	.set cross_entropy_kernel.private_seg_size, 0
	.set cross_entropy_kernel.uses_vcc, 1
	.set cross_entropy_kernel.uses_flat_scratch, 0
	.set cross_entropy_kernel.has_dyn_sized_stack, 0
	.set cross_entropy_kernel.has_recursion, 0
	.set cross_entropy_kernel.has_indirect_call, 0
	.section	.AMDGPU.csdata,"",@progbits
; Kernel info:
; codeLenInByte = 4108
; TotalNumSgprs: 28
; NumVgprs: 54
; ScratchSize: 0
; MemoryBound: 0
; FloatMode: 240
; IeeeMode: 1
; LDSByteSize: 0 bytes/workgroup (compile time only)
; SGPRBlocks: 0
; VGPRBlocks: 6
; NumSGPRsForWavesPerEU: 28
; NumVGPRsForWavesPerEU: 54
; Occupancy: 16
; WaveLimiterHint : 0
; COMPUTE_PGM_RSRC2:SCRATCH_EN: 0
; COMPUTE_PGM_RSRC2:USER_SGPR: 2
; COMPUTE_PGM_RSRC2:TRAP_HANDLER: 0
; COMPUTE_PGM_RSRC2:TGID_X_EN: 1
; COMPUTE_PGM_RSRC2:TGID_Y_EN: 1
; COMPUTE_PGM_RSRC2:TGID_Z_EN: 1
; COMPUTE_PGM_RSRC2:TIDIG_COMP_CNT: 0
	.text
	.p2alignl 7, 3214868480
	.fill 96, 4, 3214868480
	.section	.AMDGPU.gpr_maximums,"",@progbits
	.set amdgpu.max_num_vgpr, 0
	.set amdgpu.max_num_agpr, 0
	.set amdgpu.max_num_sgpr, 0
	.set amdgpu.max_num_named_barrier, 0
	.text
	.section	.debug_abbrev,"",@progbits
	.byte	1                               ; Abbreviation Code
	.byte	17                              ; DW_TAG_compile_unit
	.byte	1                               ; DW_CHILDREN_yes
	.byte	37                              ; DW_AT_producer
	.byte	14                              ; DW_FORM_strp
	.byte	19                              ; DW_AT_language
	.byte	5                               ; DW_FORM_data2
	.byte	3                               ; DW_AT_name
	.byte	14                              ; DW_FORM_strp
	.byte	16                              ; DW_AT_stmt_list
	.byte	23                              ; DW_FORM_sec_offset
	.byte	27                              ; DW_AT_comp_dir
	.byte	14                              ; DW_FORM_strp
	.byte	17                              ; DW_AT_low_pc
	.byte	1                               ; DW_FORM_addr
	.byte	18                              ; DW_AT_high_pc
	.byte	6                               ; DW_FORM_data4
	.byte	0                               ; EOM(1)
	.byte	0                               ; EOM(2)
	.byte	2                               ; Abbreviation Code
	.byte	46                              ; DW_TAG_subprogram
	.byte	0                               ; DW_CHILDREN_no
	.byte	3                               ; DW_AT_name
	.byte	14                              ; DW_FORM_strp
	.byte	32                              ; DW_AT_inline
	.byte	11                              ; DW_FORM_data1
	.byte	0                               ; EOM(1)
	.byte	0                               ; EOM(2)
	.byte	3                               ; Abbreviation Code
	.byte	46                              ; DW_TAG_subprogram
	.byte	1                               ; DW_CHILDREN_yes
	.byte	17                              ; DW_AT_low_pc
	.byte	1                               ; DW_FORM_addr
	.byte	18                              ; DW_AT_high_pc
	.byte	6                               ; DW_FORM_data4
	.byte	49                              ; DW_AT_abstract_origin
	.byte	19                              ; DW_FORM_ref4
	.byte	0                               ; EOM(1)
	.byte	0                               ; EOM(2)
	.byte	4                               ; Abbreviation Code
	.byte	29                              ; DW_TAG_inlined_subroutine
	.byte	1                               ; DW_CHILDREN_yes
	.byte	49                              ; DW_AT_abstract_origin
	.byte	19                              ; DW_FORM_ref4
	.byte	85                              ; DW_AT_ranges
	.byte	23                              ; DW_FORM_sec_offset
	.byte	88                              ; DW_AT_call_file
	.byte	11                              ; DW_FORM_data1
	.byte	89                              ; DW_AT_call_line
	.byte	11                              ; DW_FORM_data1
	.byte	87                              ; DW_AT_call_column
	.byte	11                              ; DW_FORM_data1
	.byte	0                               ; EOM(1)
	.byte	0                               ; EOM(2)
	.byte	5                               ; Abbreviation Code
	.byte	29                              ; DW_TAG_inlined_subroutine
	.byte	0                               ; DW_CHILDREN_no
	.byte	49                              ; DW_AT_abstract_origin
	.byte	19                              ; DW_FORM_ref4
	.byte	85                              ; DW_AT_ranges
	.byte	23                              ; DW_FORM_sec_offset
	.byte	88                              ; DW_AT_call_file
	.byte	11                              ; DW_FORM_data1
	.byte	89                              ; DW_AT_call_line
	.byte	11                              ; DW_FORM_data1
	.byte	87                              ; DW_AT_call_column
	.byte	11                              ; DW_FORM_data1
	.byte	0                               ; EOM(1)
	.byte	0                               ; EOM(2)
	.byte	6                               ; Abbreviation Code
	.byte	29                              ; DW_TAG_inlined_subroutine
	.byte	0                               ; DW_CHILDREN_no
	.byte	49                              ; DW_AT_abstract_origin
	.byte	19                              ; DW_FORM_ref4
	.byte	85                              ; DW_AT_ranges
	.byte	23                              ; DW_FORM_sec_offset
	.byte	88                              ; DW_AT_call_file
	.byte	11                              ; DW_FORM_data1
	.byte	89                              ; DW_AT_call_line
	.byte	5                               ; DW_FORM_data2
	.byte	87                              ; DW_AT_call_column
	.byte	11                              ; DW_FORM_data1
	.byte	0                               ; EOM(1)
	.byte	0                               ; EOM(2)
	;; [unrolled: 1-line block ×3, first 2 shown]
	.section	.debug_info,"",@progbits
.Lcu_begin0:
	.long	.Ldebug_info_end0-.Ldebug_info_start0 ; Length of Unit
.Ldebug_info_start0:
	.short	4                               ; DWARF version number
	.long	.debug_abbrev                   ; Offset Into Abbrev. Section
	.byte	8                               ; Address Size (in bytes)
	.byte	1                               ; Abbrev [1] 0xb:0x85 DW_TAG_compile_unit
	.long	.Linfo_string0                  ; DW_AT_producer
	.short	2                               ; DW_AT_language
	.long	.Linfo_string1                  ; DW_AT_name
	.long	.Lline_table_start0             ; DW_AT_stmt_list
	.long	.Linfo_string2                  ; DW_AT_comp_dir
	.quad	.Lfunc_begin0                   ; DW_AT_low_pc
	.long	.Lfunc_end0-.Lfunc_begin0       ; DW_AT_high_pc
	.byte	2                               ; Abbrev [2] 0x2a:0x6 DW_TAG_subprogram
	.long	.Linfo_string3                  ; DW_AT_name
	.byte	1                               ; DW_AT_inline
	.byte	3                               ; Abbrev [3] 0x30:0x5f DW_TAG_subprogram
	.quad	.Lfunc_begin0                   ; DW_AT_low_pc
	.long	.Lfunc_end0-.Lfunc_begin0       ; DW_AT_high_pc
	.long	42                              ; DW_AT_abstract_origin
	.byte	4                               ; Abbrev [4] 0x41:0x19 DW_TAG_inlined_subroutine
	.long	42                              ; DW_AT_abstract_origin
	.long	.Ldebug_ranges0                 ; DW_AT_ranges
	.byte	1                               ; DW_AT_call_file
	.byte	14                              ; DW_AT_call_line
	.byte	23                              ; DW_AT_call_column
	.byte	5                               ; Abbrev [5] 0x4d:0xc DW_TAG_inlined_subroutine
	.long	42                              ; DW_AT_abstract_origin
	.long	.Ldebug_ranges1                 ; DW_AT_ranges
	.byte	2                               ; DW_AT_call_file
	.byte	191                             ; DW_AT_call_line
	.byte	40                              ; DW_AT_call_column
	.byte	0                               ; End Of Children Mark
	.byte	4                               ; Abbrev [4] 0x5a:0x1a DW_TAG_inlined_subroutine
	.long	42                              ; DW_AT_abstract_origin
	.long	.Ldebug_ranges2                 ; DW_AT_ranges
	.byte	1                               ; DW_AT_call_file
	.byte	16                              ; DW_AT_call_line
	.byte	32                              ; DW_AT_call_column
	.byte	6                               ; Abbrev [6] 0x66:0xd DW_TAG_inlined_subroutine
	.long	42                              ; DW_AT_abstract_origin
	.long	.Ldebug_ranges3                 ; DW_AT_ranges
	.byte	2                               ; DW_AT_call_file
	.short	293                             ; DW_AT_call_line
	.byte	36                              ; DW_AT_call_column
	.byte	0                               ; End Of Children Mark
	.byte	4                               ; Abbrev [4] 0x74:0x1a DW_TAG_inlined_subroutine
	.long	42                              ; DW_AT_abstract_origin
	.long	.Ldebug_ranges4                 ; DW_AT_ranges
	.byte	1                               ; DW_AT_call_file
	.byte	18                              ; DW_AT_call_line
	.byte	26                              ; DW_AT_call_column
	.byte	6                               ; Abbrev [6] 0x80:0xd DW_TAG_inlined_subroutine
	.long	42                              ; DW_AT_abstract_origin
	.long	.Ldebug_ranges5                 ; DW_AT_ranges
	.byte	2                               ; DW_AT_call_file
	.short	293                             ; DW_AT_call_line
	.byte	36                              ; DW_AT_call_column
	.byte	0                               ; End Of Children Mark
	.byte	0                               ; End Of Children Mark
	;; [unrolled: 1-line block ×3, first 2 shown]
.Ldebug_info_end0:
	.section	.debug_ranges,"",@progbits
.Ldebug_ranges0:
	.quad	.Ltmp1-.Lfunc_begin0
	.quad	.Ltmp2-.Lfunc_begin0
	;; [unrolled: 1-line block ×14, first 2 shown]
	.quad	0
	.quad	0
.Ldebug_ranges1:
	.quad	.Ltmp1-.Lfunc_begin0
	.quad	.Ltmp2-.Lfunc_begin0
	;; [unrolled: 1-line block ×28, first 2 shown]
	.quad	0
	.quad	0
.Ldebug_ranges2:
	.quad	.Ltmp32-.Lfunc_begin0
	.quad	.Ltmp33-.Lfunc_begin0
	;; [unrolled: 1-line block ×34, first 2 shown]
	.quad	0
	.quad	0
.Ldebug_ranges3:
	.quad	.Ltmp32-.Lfunc_begin0
	.quad	.Ltmp33-.Lfunc_begin0
	;; [unrolled: 1-line block ×32, first 2 shown]
	.quad	0
	.quad	0
.Ldebug_ranges4:
	.quad	.Ltmp69-.Lfunc_begin0
	.quad	.Ltmp70-.Lfunc_begin0
	;; [unrolled: 1-line block ×18, first 2 shown]
	.quad	0
	.quad	0
.Ldebug_ranges5:
	.quad	.Ltmp69-.Lfunc_begin0
	.quad	.Ltmp70-.Lfunc_begin0
	.quad	.Ltmp72-.Lfunc_begin0
	.quad	.Ltmp73-.Lfunc_begin0
	.quad	.Ltmp74-.Lfunc_begin0
	.quad	.Ltmp75-.Lfunc_begin0
	.quad	.Ltmp76-.Lfunc_begin0
	.quad	.Ltmp77-.Lfunc_begin0
	.quad	.Ltmp78-.Lfunc_begin0
	.quad	.Ltmp79-.Lfunc_begin0
	.quad	.Ltmp80-.Lfunc_begin0
	.quad	.Ltmp81-.Lfunc_begin0
	.quad	.Ltmp82-.Lfunc_begin0
	.quad	.Ltmp83-.Lfunc_begin0
	.quad	.Ltmp85-.Lfunc_begin0
	.quad	.Ltmp86-.Lfunc_begin0
	.quad	0
	.quad	0
	.section	.debug_str,"MS",@progbits,1
.Linfo_string0:
	.asciz	"triton"                        ; string offset=0
.Linfo_string1:
	.asciz	"cross_entropy.py"              ; string offset=7
.Linfo_string2:
	.asciz	"/root/src/amdgpu-assembly/repos/triton-lang__triton-aot" ; string offset=24
.Linfo_string3:
	.asciz	"cross_entropy_kernel"          ; string offset=80
	.section	".note.GNU-stack","",@progbits
	.amdgpu_metadata
---
amdhsa.kernels:
  - .args:
      - .address_space:  global
        .offset:         0
        .size:           8
        .value_kind:     global_buffer
      - .address_space:  global
        .offset:         8
        .size:           8
        .value_kind:     global_buffer
      - .address_space:  global
        .offset:         16
        .size:           8
        .value_kind:     global_buffer
      - .offset:         24
        .size:           4
        .value_kind:     by_value
      - .offset:         28
        .size:           4
        .value_kind:     by_value
      - .address_space:  global
        .offset:         32
        .size:           8
        .value_kind:     global_buffer
      - .address_space:  global
        .offset:         40
        .size:           8
        .value_kind:     global_buffer
    .group_segment_fixed_size: 0
    .kernarg_segment_align: 8
    .kernarg_segment_size: 48
    .max_flat_workgroup_size: 128
    .name:           cross_entropy_kernel
    .private_segment_fixed_size: 0
    .sgpr_count:     28
    .sgpr_spill_count: 0
    .symbol:         cross_entropy_kernel.kd
    .uniform_work_group_size: 1
    .uses_dynamic_stack: false
    .vgpr_count:     54
    .vgpr_spill_count: 0
    .wavefront_size: 32
    .workgroup_processor_mode: 1
amdhsa.target:   amdgcn-amd-amdhsa--gfx1201
amdhsa.version:
  - 1
  - 2
...

	.end_amdgpu_metadata
	.section	.debug_line,"",@progbits
.Lline_table_start0:
